;; amdgpu-corpus repo=zjin-lcf/HeCBench kind=compiled arch=gfx1100 opt=O3
	.text
	.amdgcn_target "amdgcn-amd-amdhsa--gfx1100"
	.amdhsa_code_object_version 6
	.protected	_Z11EstepKernelPKiS0_PKbPKfbiiiiS4_S4_PfS5_S5_S5_S5_Pi ; -- Begin function _Z11EstepKernelPKiS0_PKbPKfbiiiiS4_S4_PfS5_S5_S5_S5_Pi
	.globl	_Z11EstepKernelPKiS0_PKbPKfbiiiiS4_S4_PfS5_S5_S5_S5_Pi
	.p2align	8
	.type	_Z11EstepKernelPKiS0_PKbPKfbiiiiS4_S4_PfS5_S5_S5_S5_Pi,@function
_Z11EstepKernelPKiS0_PKbPKfbiiiiS4_S4_PfS5_S5_S5_S5_Pi: ; @_Z11EstepKernelPKiS0_PKbPKfbiiiiS4_S4_PfS5_S5_S5_S5_Pi
; %bb.0:
	s_load_b128 s[28:31], s[0:1], 0x28
	s_waitcnt lgkmcnt(0)
	s_cmp_ge_i32 s15, s28
	s_cbranch_scc1 .LBB0_126
; %bb.1:
	s_mov_b32 s10, s15
	s_clause 0x5
	s_load_b32 s5, s[0:1], 0x20
	s_load_b256 s[12:19], s[0:1], 0x58
	s_load_b256 s[20:27], s[0:1], 0x38
	;; [unrolled: 1-line block ×3, first 2 shown]
	s_load_b32 s31, s[0:1], 0x78
	s_load_b32 s8, s[0:1], 0x84
	s_mul_i32 s6, s10, s29
	s_mov_b32 s7, 0
	v_mbcnt_lo_u32_b32 v4, -1, 0
	s_mov_b32 s11, s7
	v_dual_mov_b32 v2, 0 :: v_dual_and_b32 v1, 31, v0
	v_lshrrev_b32_e32 v3, 3, v0
	s_delay_alu instid0(VALU_DEP_3) | instskip(SKIP_1) | instid1(VALU_DEP_4)
	v_cmp_gt_u32_e32 vcc_lo, 16, v4
	v_cmp_gt_i32_e64 s2, s29, v0
	v_lshlrev_b32_e32 v8, 2, v1
	v_cmp_gt_u32_e64 s3, 32, v0
	v_and_b32_e32 v7, 0x7c, v3
	v_cmp_eq_u32_e64 s4, 0, v0
	s_waitcnt lgkmcnt(0)
	s_bitcmp1_b32 s5, 0
	s_mul_i32 s5, s29, 12
	s_cselect_b32 s9, -1, 0
	s_lshl_b32 s33, s29, 2
	s_lshl_b64 s[0:1], s[6:7], 2
	s_add_i32 s44, s33, 0x80
	s_delay_alu instid0(SALU_CYCLE_1) | instskip(NEXT) | instid1(SALU_CYCLE_1)
	s_add_i32 s45, s44, s33
	s_add_i32 s45, s45, s33
	s_add_u32 s46, s26, s0
	s_addc_u32 s47, s27, s1
	s_cmp_gt_i32 s30, 0
	v_cmp_eq_u32_e64 s0, 0, v1
	s_cselect_b32 s48, -1, 0
	s_lshl_b64 s[6:7], s[10:11], 2
	v_cndmask_b32_e64 v1, 0, 1, vcc_lo
	s_add_u32 s14, s14, s6
	s_addc_u32 s15, s15, s7
	s_add_u32 s16, s16, s6
	s_addc_u32 s17, s17, s7
	s_and_b32 s49, s8, 0xffff
	v_cmp_gt_u32_e32 vcc_lo, 24, v4
	s_cmp_gt_u32 s49, 32
	v_lshlrev_b32_e32 v1, 4, v1
	s_cselect_b32 s50, -1, 0
	s_abs_i32 s51, s29
	v_cndmask_b32_e64 v5, 0, 1, vcc_lo
	v_cvt_f32_u32_e32 v3, s51
	v_cmp_gt_u32_e32 vcc_lo, 28, v4
	s_sub_i32 s6, 0, s51
	s_bfe_u32 s1, s8, 0xb0005
	v_lshlrev_b32_e32 v5, 3, v5
	v_rcp_iflag_f32_e32 v3, v3
	v_cndmask_b32_e64 v11, 0, 1, vcc_lo
	v_cmp_gt_u32_e32 vcc_lo, 30, v4
	v_lshlrev_b32_e32 v6, 2, v0
	s_lshl_b32 s53, s29, 3
	v_cmp_gt_u32_e64 s1, s1, v0
	v_lshlrev_b32_e32 v14, 2, v11
	v_cndmask_b32_e64 v12, 0, 1, vcc_lo
	v_cmp_ne_u32_e32 vcc_lo, 31, v4
	s_and_b32 s52, s2, s9
	v_mul_f32_e32 v3, 0x4f7ffffe, v3
	v_add3_u32 v9, 0x80, s5, v6
	v_lshlrev_b32_e32 v15, 1, v12
	v_add_lshl_u32 v12, v1, v4, 2
	v_add_co_ci_u32_e32 v13, vcc_lo, 0, v4, vcc_lo
	v_cvt_u32_f32_e32 v1, v3
	v_add_nc_u32_e32 v10, 0x80, v6
	v_add_lshl_u32 v14, v14, v4, 2
	s_delay_alu instid0(VALU_DEP_4)
	v_lshlrev_b32_e32 v11, 2, v13
	v_add_lshl_u32 v13, v5, v4, 2
	v_readfirstlane_b32 s5, v1
	v_add_lshl_u32 v15, v15, v4, 2
	v_add_nc_u32_e32 v16, s44, v6
	v_add3_u32 v17, 0x80, s53, v6
	v_mov_b32_e32 v1, 1
	s_mul_i32 s6, s6, s5
	s_ashr_i32 s54, s29, 31
	s_mul_hi_u32 s6, s5, s6
	s_lshl_b32 s56, s49, 2
	s_add_i32 s55, s5, s6
	s_branch .LBB0_3
.LBB0_2:                                ;   in Loop: Header=BB0_3 Depth=1
	s_or_b32 exec_lo, exec_lo, s5
	s_add_i32 s10, s31, s10
	s_waitcnt_vscnt null, 0x0
	s_cmp_ge_i32 s10, s28
	s_barrier
	buffer_gl0_inv
	s_cbranch_scc1 .LBB0_126
.LBB0_3:                                ; =>This Loop Header: Depth=1
                                        ;     Child Loop BB0_5 Depth 2
                                        ;     Child Loop BB0_8 Depth 2
	;; [unrolled: 1-line block ×3, first 2 shown]
                                        ;       Child Loop BB0_14 Depth 3
                                        ;       Child Loop BB0_19 Depth 3
                                        ;         Child Loop BB0_23 Depth 4
                                        ;           Child Loop BB0_25 Depth 5
                                        ;         Child Loop BB0_29 Depth 4
                                        ;         Child Loop BB0_42 Depth 4
	;; [unrolled: 1-line block ×6, first 2 shown]
                                        ;       Child Loop BB0_75 Depth 3
                                        ;     Child Loop BB0_78 Depth 2
                                        ;     Child Loop BB0_92 Depth 2
                                        ;       Child Loop BB0_94 Depth 3
                                        ;       Child Loop BB0_98 Depth 3
                                        ;     Child Loop BB0_100 Depth 2
                                        ;     Child Loop BB0_113 Depth 2
	s_ashr_i32 s11, s10, 31
	s_mul_i32 s8, s10, s29
	s_lshl_b64 s[6:7], s[10:11], 2
	s_delay_alu instid0(SALU_CYCLE_1) | instskip(SKIP_4) | instid1(SALU_CYCLE_1)
	s_add_u32 s6, s38, s6
	s_addc_u32 s7, s39, s7
	s_ashr_i32 s9, s8, 31
	s_load_b64 s[6:7], s[6:7], 0x0
	s_lshl_b64 s[8:9], s[8:9], 2
	s_add_u32 s11, s24, s8
	s_addc_u32 s57, s25, s9
	s_and_saveexec_b32 s8, s52
	s_cbranch_execz .LBB0_6
; %bb.4:                                ;   in Loop: Header=BB0_3 Depth=1
	s_waitcnt lgkmcnt(0)
	s_sub_i32 s5, s7, s6
	v_mov_b32_e32 v3, v0
	s_abs_i32 s9, s5
	s_ashr_i32 s5, s5, 31
	s_mul_hi_u32 s26, s9, s55
	s_xor_b32 s5, s5, s54
	s_mul_i32 s27, s26, s51
	s_delay_alu instid0(SALU_CYCLE_1)
	s_sub_i32 s9, s9, s27
	s_add_i32 s27, s26, 1
	s_sub_i32 s34, s9, s51
	s_cmp_ge_u32 s9, s51
	s_cselect_b32 s26, s27, s26
	s_cselect_b32 s9, s34, s9
	s_add_i32 s27, s26, 1
	s_cmp_ge_u32 s9, s51
	s_cselect_b32 s9, s27, s26
	s_delay_alu instid0(SALU_CYCLE_1) | instskip(NEXT) | instid1(SALU_CYCLE_1)
	s_xor_b32 s9, s9, s5
	s_sub_i32 s5, s9, s5
	s_mov_b32 s9, 0
	v_cvt_f32_i32_e32 v5, s5
	.p2align	6
.LBB0_5:                                ;   Parent Loop BB0_3 Depth=1
                                        ; =>  This Inner Loop Header: Depth=2
	v_ashrrev_i32_e32 v4, 31, v3
	s_delay_alu instid0(VALU_DEP_1) | instskip(NEXT) | instid1(VALU_DEP_1)
	v_lshlrev_b64 v[18:19], 2, v[3:4]
	v_add_co_u32 v20, vcc_lo, s20, v18
	s_delay_alu instid0(VALU_DEP_2) | instskip(SKIP_1) | instid1(VALU_DEP_1)
	v_add_co_ci_u32_e32 v21, vcc_lo, s21, v19, vcc_lo
	v_add_co_u32 v18, s5, s11, v18
	v_add_co_ci_u32_e64 v19, s5, s57, v19, s5
	global_load_b32 v4, v[20:21], off
	s_waitcnt vmcnt(0)
	v_dual_add_f32 v4, v4, v5 :: v_dual_add_nc_u32 v3, s49, v3
	s_delay_alu instid0(VALU_DEP_1) | instskip(SKIP_2) | instid1(SALU_CYCLE_1)
	v_cmp_le_i32_e32 vcc_lo, s29, v3
	global_store_b32 v[18:19], v4, off
	s_or_b32 s9, vcc_lo, s9
	s_and_not1_b32 exec_lo, exec_lo, s9
	s_cbranch_execnz .LBB0_5
.LBB0_6:                                ;   in Loop: Header=BB0_3 Depth=1
	s_or_b32 exec_lo, exec_lo, s8
	s_waitcnt lgkmcnt(0)
	s_waitcnt_vscnt null, 0x0
	s_barrier
	buffer_gl0_inv
	s_and_saveexec_b32 s5, s2
	s_cbranch_execz .LBB0_9
; %bb.7:                                ;   in Loop: Header=BB0_3 Depth=1
	v_dual_mov_b32 v3, v9 :: v_dual_mov_b32 v4, v0
	s_mov_b32 s8, 0
.LBB0_8:                                ;   Parent Loop BB0_3 Depth=1
                                        ; =>  This Inner Loop Header: Depth=2
	s_delay_alu instid0(VALU_DEP_1) | instskip(SKIP_4) | instid1(SALU_CYCLE_1)
	v_add_nc_u32_e32 v4, s49, v4
	ds_store_b32 v3, v2
	v_add_nc_u32_e32 v3, s56, v3
	v_cmp_le_i32_e32 vcc_lo, s29, v4
	s_or_b32 s8, vcc_lo, s8
	s_and_not1_b32 exec_lo, exec_lo, s8
	s_cbranch_execnz .LBB0_8
.LBB0_9:                                ;   in Loop: Header=BB0_3 Depth=1
	s_or_b32 exec_lo, exec_lo, s5
	s_delay_alu instid0(SALU_CYCLE_1)
	s_and_not1_b32 vcc_lo, exec_lo, s48
	s_cbranch_vccnz .LBB0_76
; %bb.10:                               ;   in Loop: Header=BB0_3 Depth=1
	s_cmp_gt_i32 s7, s6
	s_mov_b32 s59, 0
	s_cselect_b32 s58, -1, 0
	s_branch .LBB0_12
.LBB0_11:                               ;   in Loop: Header=BB0_12 Depth=2
	s_or_b32 exec_lo, exec_lo, s8
	s_add_i32 s59, s59, 1
	s_waitcnt_vscnt null, 0x0
	s_cmp_eq_u32 s59, s30
	s_barrier
	buffer_gl0_inv
	s_cbranch_scc1 .LBB0_76
.LBB0_12:                               ;   Parent Loop BB0_3 Depth=1
                                        ; =>  This Loop Header: Depth=2
                                        ;       Child Loop BB0_14 Depth 3
                                        ;       Child Loop BB0_19 Depth 3
                                        ;         Child Loop BB0_23 Depth 4
                                        ;           Child Loop BB0_25 Depth 5
                                        ;         Child Loop BB0_29 Depth 4
                                        ;         Child Loop BB0_42 Depth 4
	;; [unrolled: 1-line block ×6, first 2 shown]
                                        ;       Child Loop BB0_75 Depth 3
	s_and_saveexec_b32 s5, s2
	s_cbranch_execz .LBB0_15
; %bb.13:                               ;   in Loop: Header=BB0_12 Depth=2
	v_dual_mov_b32 v3, v10 :: v_dual_mov_b32 v4, v0
	s_mov_b32 s8, 0
.LBB0_14:                               ;   Parent Loop BB0_3 Depth=1
                                        ;     Parent Loop BB0_12 Depth=2
                                        ; =>    This Inner Loop Header: Depth=3
	s_delay_alu instid0(VALU_DEP_1) | instskip(SKIP_4) | instid1(SALU_CYCLE_1)
	v_add_nc_u32_e32 v4, s49, v4
	ds_store_b32 v3, v2
	v_add_nc_u32_e32 v3, s56, v3
	v_cmp_le_i32_e32 vcc_lo, s29, v4
	s_or_b32 s8, vcc_lo, s8
	s_and_not1_b32 exec_lo, exec_lo, s8
	s_cbranch_execnz .LBB0_14
.LBB0_15:                               ;   in Loop: Header=BB0_12 Depth=2
	s_or_b32 exec_lo, exec_lo, s5
	s_delay_alu instid0(SALU_CYCLE_1)
	s_and_not1_b32 vcc_lo, exec_lo, s58
	s_waitcnt lgkmcnt(0)
	s_barrier
	buffer_gl0_inv
	s_cbranch_vccnz .LBB0_73
; %bb.16:                               ;   in Loop: Header=BB0_12 Depth=2
	s_add_i32 s5, s59, 1
	s_mov_b32 s8, s6
	s_cmp_lg_u32 s5, s30
	s_cselect_b32 s60, -1, 0
	s_cmp_eq_u32 s5, s30
	s_cselect_b32 s61, -1, 0
	s_branch .LBB0_19
.LBB0_17:                               ;   in Loop: Header=BB0_19 Depth=3
	s_or_b32 exec_lo, exec_lo, s5
	s_waitcnt_vscnt null, 0x0
	s_barrier
	buffer_gl0_inv
.LBB0_18:                               ;   in Loop: Header=BB0_19 Depth=3
	s_add_i32 s8, s8, 1
	s_waitcnt lgkmcnt(0)
	s_cmp_ge_i32 s8, s7
	s_barrier
	buffer_gl0_inv
	s_cbranch_scc1 .LBB0_73
.LBB0_19:                               ;   Parent Loop BB0_3 Depth=1
                                        ;     Parent Loop BB0_12 Depth=2
                                        ; =>    This Loop Header: Depth=3
                                        ;         Child Loop BB0_23 Depth 4
                                        ;           Child Loop BB0_25 Depth 5
                                        ;         Child Loop BB0_29 Depth 4
                                        ;         Child Loop BB0_42 Depth 4
                                        ;         Child Loop BB0_48 Depth 4
                                        ;         Child Loop BB0_51 Depth 4
                                        ;         Child Loop BB0_57 Depth 4
                                        ;         Child Loop BB0_60 Depth 4
	s_ashr_i32 s9, s8, 31
	s_delay_alu instid0(SALU_CYCLE_1) | instskip(NEXT) | instid1(SALU_CYCLE_1)
	s_lshl_b64 s[26:27], s[8:9], 2
	s_add_u32 s34, s36, s26
	s_addc_u32 s35, s37, s27
	s_add_u32 s62, s40, s8
	s_addc_u32 s63, s41, s9
	global_load_u8 v3, v2, s[62:63]
	s_waitcnt vmcnt(0)
	v_readfirstlane_b32 s5, v3
	s_delay_alu instid0(VALU_DEP_1)
	s_bitcmp1_b32 s5, 0
	s_cselect_b32 s62, -1, 0
	s_add_u32 s64, s42, s26
	s_addc_u32 s65, s43, s27
	s_load_b32 s26, s[34:35], 0x0
	s_load_b32 s9, s[64:65], 0x0
	s_and_b32 s5, s62, s60
	s_delay_alu instid0(SALU_CYCLE_1)
	s_and_b32 vcc_lo, exec_lo, s5
	s_cbranch_vccnz .LBB0_44
; %bb.20:                               ;   in Loop: Header=BB0_19 Depth=3
	s_and_saveexec_b32 s27, s2
	s_cbranch_execz .LBB0_27
; %bb.21:                               ;   in Loop: Header=BB0_19 Depth=3
	v_mov_b32_e32 v3, v0
	s_waitcnt lgkmcnt(0)
	s_mul_i32 s34, s26, s29
	s_mov_b32 s35, 0
	s_branch .LBB0_23
.LBB0_22:                               ;   in Loop: Header=BB0_23 Depth=4
	s_or_b32 exec_lo, exec_lo, s5
	v_add_f32_e32 v18, -0.5, v18
	s_delay_alu instid0(VALU_DEP_1) | instskip(NEXT) | instid1(VALU_DEP_1)
	v_cmp_gt_f32_e64 s5, 0x800000, v18
	v_cndmask_b32_e64 v21, 1.0, 0x4f800000, s5
	s_delay_alu instid0(VALU_DEP_1) | instskip(NEXT) | instid1(VALU_DEP_1)
	v_mul_f32_e32 v21, v18, v21
	v_log_f32_e32 v21, v21
	s_waitcnt_depctr 0xfff
	v_mul_f32_e32 v25, 0x3f317217, v21
	v_div_scale_f32 v19, null, v18, v18, 1.0
	v_div_scale_f32 v23, vcc_lo, 1.0, v18, 1.0
	s_delay_alu instid0(VALU_DEP_2) | instskip(SKIP_2) | instid1(VALU_DEP_1)
	v_rcp_f32_e32 v20, v19
	s_waitcnt_depctr 0xfff
	v_fma_f32 v22, -v19, v20, 1.0
	v_fmac_f32_e32 v20, v22, v20
	s_delay_alu instid0(VALU_DEP_1) | instskip(NEXT) | instid1(VALU_DEP_1)
	v_mul_f32_e32 v22, v23, v20
	v_fma_f32 v24, -v19, v22, v23
	s_delay_alu instid0(VALU_DEP_1) | instskip(SKIP_1) | instid1(VALU_DEP_2)
	v_fmac_f32_e32 v22, v24, v20
	v_fma_f32 v24, 0x3f317217, v21, -v25
	v_fma_f32 v19, -v19, v22, v23
	s_delay_alu instid0(VALU_DEP_1) | instskip(SKIP_1) | instid1(VALU_DEP_4)
	v_div_fmas_f32 v19, v19, v20, v22
	v_cmp_gt_f32_e64 vcc_lo, 0x7f800000, |v21|
	v_fmac_f32_e32 v24, 0x3377d1cf, v21
	v_cndmask_b32_e64 v22, 0, 0x41b17218, s5
	s_delay_alu instid0(VALU_DEP_4) | instskip(NEXT) | instid1(VALU_DEP_1)
	v_div_fixup_f32 v18, v19, v18, 1.0
	v_mul_f32_e32 v18, v18, v18
	s_delay_alu instid0(VALU_DEP_4) | instskip(NEXT) | instid1(VALU_DEP_1)
	v_add_f32_e32 v20, v25, v24
	v_dual_cndmask_b32 v19, v21, v20 :: v_dual_mul_f32 v20, v18, v18
	s_delay_alu instid0(VALU_DEP_1) | instskip(NEXT) | instid1(VALU_DEP_2)
	v_sub_f32_e32 v19, v19, v22
	v_mul_f32_e32 v21, 0x3b7befbf, v20
	v_mul_f32_e32 v22, 0xbb877777, v20
	s_delay_alu instid0(VALU_DEP_3) | instskip(NEXT) | instid1(VALU_DEP_1)
	v_fmac_f32_e32 v19, 0x3d2aaaab, v18
	v_fmac_f32_e32 v19, 0xbbeeeeef, v20
	s_delay_alu instid0(VALU_DEP_1) | instskip(NEXT) | instid1(VALU_DEP_1)
	v_fmac_f32_e32 v19, v18, v21
	v_fmac_f32_e32 v19, v20, v22
	s_delay_alu instid0(VALU_DEP_1) | instskip(NEXT) | instid1(VALU_DEP_1)
	v_add_f32_e32 v5, v5, v19
	v_mul_f32_e32 v18, 0x3fb8aa3b, v5
	v_cmp_ngt_f32_e32 vcc_lo, 0xc2ce8ed0, v5
	s_delay_alu instid0(VALU_DEP_2) | instskip(SKIP_1) | instid1(VALU_DEP_1)
	v_fma_f32 v19, 0x3fb8aa3b, v5, -v18
	v_rndne_f32_e32 v20, v18
	v_dual_fmac_f32 v19, 0x32a5705f, v5 :: v_dual_sub_f32 v18, v18, v20
	s_delay_alu instid0(VALU_DEP_1) | instskip(SKIP_1) | instid1(VALU_DEP_2)
	v_add_f32_e32 v18, v18, v19
	v_cvt_i32_f32_e32 v19, v20
	v_exp_f32_e32 v18, v18
	s_waitcnt_depctr 0xfff
	v_ldexp_f32 v18, v18, v19
	v_lshl_add_u32 v19, v3, 2, s44
	s_delay_alu instid0(VALU_DEP_2) | instskip(SKIP_1) | instid1(VALU_DEP_2)
	v_dual_cndmask_b32 v18, 0, v18 :: v_dual_add_nc_u32 v3, s49, v3
	v_cmp_nlt_f32_e32 vcc_lo, 0x42b17218, v5
	v_cndmask_b32_e32 v5, 0x7f800000, v18, vcc_lo
	s_delay_alu instid0(VALU_DEP_3) | instskip(SKIP_1) | instid1(VALU_DEP_2)
	v_cmp_le_i32_e32 vcc_lo, s29, v3
	s_waitcnt vmcnt(0)
	v_mul_f32_e32 v4, v4, v5
	s_or_b32 s35, vcc_lo, s35
	ds_store_b32 v19, v4
	s_and_not1_b32 exec_lo, exec_lo, s35
	s_cbranch_execz .LBB0_27
.LBB0_23:                               ;   Parent Loop BB0_3 Depth=1
                                        ;     Parent Loop BB0_12 Depth=2
                                        ;       Parent Loop BB0_19 Depth=3
                                        ; =>      This Loop Header: Depth=4
                                        ;           Child Loop BB0_25 Depth 5
	v_ashrrev_i32_e32 v4, 31, v3
	v_add_nc_u32_e32 v18, s34, v3
	s_mov_b32 s5, exec_lo
	s_delay_alu instid0(VALU_DEP_2) | instskip(NEXT) | instid1(VALU_DEP_2)
	v_lshlrev_b64 v[4:5], 2, v[3:4]
	v_ashrrev_i32_e32 v19, 31, v18
	s_delay_alu instid0(VALU_DEP_1) | instskip(NEXT) | instid1(VALU_DEP_3)
	v_lshlrev_b64 v[19:20], 2, v[18:19]
	v_add_co_u32 v4, vcc_lo, s11, v4
	s_delay_alu instid0(VALU_DEP_4)
	v_add_co_ci_u32_e32 v5, vcc_lo, s57, v5, vcc_lo
	global_load_b32 v18, v[4:5], off
	v_add_co_u32 v4, vcc_lo, s22, v19
	v_add_co_ci_u32_e32 v5, vcc_lo, s23, v20, vcc_lo
	global_load_b32 v4, v[4:5], off
	v_mov_b32_e32 v5, 0
	s_waitcnt vmcnt(1)
	v_cmpx_gt_f32_e32 0x40e00000, v18
	s_cbranch_execz .LBB0_22
; %bb.24:                               ;   in Loop: Header=BB0_23 Depth=4
	v_mov_b32_e32 v5, 0
	s_mov_b32 s63, 0
	.p2align	6
.LBB0_25:                               ;   Parent Loop BB0_3 Depth=1
                                        ;     Parent Loop BB0_12 Depth=2
                                        ;       Parent Loop BB0_19 Depth=3
                                        ;         Parent Loop BB0_23 Depth=4
                                        ; =>        This Inner Loop Header: Depth=5
	v_div_scale_f32 v19, null, v18, v18, 1.0
	v_div_scale_f32 v22, vcc_lo, 1.0, v18, 1.0
	s_delay_alu instid0(VALU_DEP_2) | instskip(SKIP_2) | instid1(VALU_DEP_1)
	v_rcp_f32_e32 v20, v19
	s_waitcnt_depctr 0xfff
	v_fma_f32 v21, -v19, v20, 1.0
	v_fmac_f32_e32 v20, v21, v20
	s_delay_alu instid0(VALU_DEP_1) | instskip(NEXT) | instid1(VALU_DEP_1)
	v_mul_f32_e32 v21, v22, v20
	v_fma_f32 v23, -v19, v21, v22
	s_delay_alu instid0(VALU_DEP_1) | instskip(NEXT) | instid1(VALU_DEP_1)
	v_fmac_f32_e32 v21, v23, v20
	v_fma_f32 v19, -v19, v21, v22
	s_delay_alu instid0(VALU_DEP_1) | instskip(NEXT) | instid1(VALU_DEP_1)
	v_div_fmas_f32 v19, v19, v20, v21
	v_div_fixup_f32 v19, v19, v18, 1.0
	s_delay_alu instid0(VALU_DEP_1) | instskip(NEXT) | instid1(VALU_DEP_1)
	v_dual_add_f32 v18, 1.0, v18 :: v_dual_sub_f32 v5, v5, v19
	v_cmp_ngt_f32_e32 vcc_lo, 0x40e00000, v18
	s_or_b32 s63, vcc_lo, s63
	s_delay_alu instid0(SALU_CYCLE_1)
	s_and_not1_b32 exec_lo, exec_lo, s63
	s_cbranch_execnz .LBB0_25
; %bb.26:                               ;   in Loop: Header=BB0_23 Depth=4
	s_or_b32 exec_lo, exec_lo, s63
	s_branch .LBB0_22
.LBB0_27:                               ;   in Loop: Header=BB0_19 Depth=3
	s_or_b32 exec_lo, exec_lo, s27
	v_mov_b32_e32 v3, 0
	s_waitcnt lgkmcnt(0)
	s_barrier
	buffer_gl0_inv
	s_and_saveexec_b32 s5, s2
	s_cbranch_execz .LBB0_31
; %bb.28:                               ;   in Loop: Header=BB0_19 Depth=3
	v_dual_mov_b32 v3, 0 :: v_dual_mov_b32 v4, v16
	v_mov_b32_e32 v5, v0
	s_mov_b32 s27, 0
.LBB0_29:                               ;   Parent Loop BB0_3 Depth=1
                                        ;     Parent Loop BB0_12 Depth=2
                                        ;       Parent Loop BB0_19 Depth=3
                                        ; =>      This Inner Loop Header: Depth=4
	ds_load_b32 v18, v4
	v_add_nc_u32_e32 v5, s49, v5
	v_add_nc_u32_e32 v4, s56, v4
	s_delay_alu instid0(VALU_DEP_2)
	v_cmp_le_i32_e32 vcc_lo, s29, v5
	s_or_b32 s27, vcc_lo, s27
	s_waitcnt lgkmcnt(0)
	v_add_f32_e32 v3, v3, v18
	s_and_not1_b32 exec_lo, exec_lo, s27
	s_cbranch_execnz .LBB0_29
; %bb.30:                               ;   in Loop: Header=BB0_19 Depth=3
	s_or_b32 exec_lo, exec_lo, s27
.LBB0_31:                               ;   in Loop: Header=BB0_19 Depth=3
	s_delay_alu instid0(SALU_CYCLE_1)
	s_or_b32 exec_lo, exec_lo, s5
	ds_bpermute_b32 v4, v12, v3
	s_waitcnt lgkmcnt(0)
	v_add_f32_e32 v3, v3, v4
	ds_bpermute_b32 v4, v13, v3
	s_waitcnt lgkmcnt(0)
	v_add_f32_e32 v3, v3, v4
	;; [unrolled: 3-line block ×4, first 2 shown]
	ds_bpermute_b32 v4, v11, v3
	s_and_saveexec_b32 s5, s0
	s_cbranch_execz .LBB0_33
; %bb.32:                               ;   in Loop: Header=BB0_19 Depth=3
	s_waitcnt lgkmcnt(0)
	v_add_f32_e32 v3, v3, v4
	ds_store_b32 v7, v3
.LBB0_33:                               ;   in Loop: Header=BB0_19 Depth=3
	s_or_b32 exec_lo, exec_lo, s5
	s_delay_alu instid0(SALU_CYCLE_1)
	s_and_not1_b32 vcc_lo, exec_lo, s50
	s_waitcnt lgkmcnt(0)
	s_barrier
	buffer_gl0_inv
	s_cbranch_vccnz .LBB0_40
; %bb.34:                               ;   in Loop: Header=BB0_19 Depth=3
	v_mov_b32_e32 v3, 0
	s_and_saveexec_b32 s5, s1
	s_cbranch_execz .LBB0_36
; %bb.35:                               ;   in Loop: Header=BB0_19 Depth=3
	ds_load_b32 v3, v8
.LBB0_36:                               ;   in Loop: Header=BB0_19 Depth=3
	s_or_b32 exec_lo, exec_lo, s5
	s_and_saveexec_b32 s5, s3
	s_cbranch_execz .LBB0_39
; %bb.37:                               ;   in Loop: Header=BB0_19 Depth=3
	s_waitcnt lgkmcnt(0)
	ds_bpermute_b32 v4, v12, v3
	s_waitcnt lgkmcnt(0)
	v_add_f32_e32 v3, v3, v4
	ds_bpermute_b32 v4, v13, v3
	s_waitcnt lgkmcnt(0)
	v_add_f32_e32 v3, v3, v4
	;; [unrolled: 3-line block ×4, first 2 shown]
	ds_bpermute_b32 v4, v11, v3
	s_and_b32 exec_lo, exec_lo, s4
	s_cbranch_execz .LBB0_39
; %bb.38:                               ;   in Loop: Header=BB0_19 Depth=3
	s_waitcnt lgkmcnt(0)
	v_add_f32_e32 v3, v3, v4
	ds_store_b32 v2, v3
.LBB0_39:                               ;   in Loop: Header=BB0_19 Depth=3
	s_or_b32 exec_lo, exec_lo, s5
	s_waitcnt lgkmcnt(0)
	s_barrier
	buffer_gl0_inv
.LBB0_40:                               ;   in Loop: Header=BB0_19 Depth=3
	s_and_saveexec_b32 s5, s2
	s_cbranch_execz .LBB0_43
; %bb.41:                               ;   in Loop: Header=BB0_19 Depth=3
	ds_load_b32 v3, v2
	v_dual_mov_b32 v4, v6 :: v_dual_mov_b32 v5, v0
	s_and_b32 s27, s62, exec_lo
	s_cselect_b32 s27, s45, 0x80
	s_mov_b32 s34, 0
	s_set_inst_prefetch_distance 0x1
	.p2align	6
.LBB0_42:                               ;   Parent Loop BB0_3 Depth=1
                                        ;     Parent Loop BB0_12 Depth=2
                                        ;       Parent Loop BB0_19 Depth=3
                                        ; =>      This Inner Loop Header: Depth=4
	v_add_nc_u32_e32 v18, s44, v4
	ds_load_b32 v19, v18
	s_waitcnt lgkmcnt(0)
	v_div_scale_f32 v20, null, v3, v3, v19
	v_div_scale_f32 v23, vcc_lo, v19, v3, v19
	s_delay_alu instid0(VALU_DEP_2) | instskip(SKIP_2) | instid1(VALU_DEP_1)
	v_rcp_f32_e32 v21, v20
	s_waitcnt_depctr 0xfff
	v_fma_f32 v22, -v20, v21, 1.0
	v_fmac_f32_e32 v21, v22, v21
	s_delay_alu instid0(VALU_DEP_1) | instskip(NEXT) | instid1(VALU_DEP_1)
	v_mul_f32_e32 v22, v23, v21
	v_fma_f32 v24, -v20, v22, v23
	s_delay_alu instid0(VALU_DEP_1) | instskip(NEXT) | instid1(VALU_DEP_1)
	v_fmac_f32_e32 v22, v24, v21
	v_fma_f32 v20, -v20, v22, v23
	s_delay_alu instid0(VALU_DEP_1) | instskip(NEXT) | instid1(VALU_DEP_1)
	v_div_fmas_f32 v20, v20, v21, v22
	v_div_fixup_f32 v19, v20, v3, v19
	v_add_nc_u32_e32 v20, s27, v4
	v_add_nc_u32_e32 v4, s56, v4
	ds_store_b32 v18, v19
	ds_load_b32 v18, v20
	s_waitcnt lgkmcnt(0)
	v_dual_fmac_f32 v18, s9, v19 :: v_dual_add_nc_u32 v5, s49, v5
	s_delay_alu instid0(VALU_DEP_1) | instskip(SKIP_2) | instid1(SALU_CYCLE_1)
	v_cmp_le_i32_e32 vcc_lo, s29, v5
	ds_store_b32 v20, v18
	s_or_b32 s34, vcc_lo, s34
	s_and_not1_b32 exec_lo, exec_lo, s34
	s_cbranch_execnz .LBB0_42
.LBB0_43:                               ;   in Loop: Header=BB0_19 Depth=3
	s_set_inst_prefetch_distance 0x2
	s_or_b32 exec_lo, exec_lo, s5
	s_waitcnt lgkmcnt(0)
	s_barrier
	buffer_gl0_inv
.LBB0_44:                               ;   in Loop: Header=BB0_19 Depth=3
	s_and_not1_b32 vcc_lo, exec_lo, s61
	s_cbranch_vccnz .LBB0_18
; %bb.45:                               ;   in Loop: Header=BB0_19 Depth=3
	s_xor_b32 s5, s62, -1
	s_delay_alu instid0(SALU_CYCLE_1)
	s_and_not1_b32 vcc_lo, exec_lo, s5
	s_cbranch_vccnz .LBB0_55
; %bb.46:                               ;   in Loop: Header=BB0_19 Depth=3
	s_and_saveexec_b32 s5, s4
	s_cbranch_execz .LBB0_49
; %bb.47:                               ;   in Loop: Header=BB0_19 Depth=3
	s_waitcnt lgkmcnt(0)
	s_ashr_i32 s27, s26, 31
	s_delay_alu instid0(SALU_CYCLE_1)
	s_lshl_b64 s[34:35], s[26:27], 2
	s_mov_b32 s27, 0
	s_add_u32 s34, s18, s34
	s_addc_u32 s35, s19, s35
.LBB0_48:                               ;   Parent Loop BB0_3 Depth=1
                                        ;     Parent Loop BB0_12 Depth=2
                                        ;       Parent Loop BB0_19 Depth=3
                                        ; =>      This Inner Loop Header: Depth=4
	global_atomic_cmpswap_b32 v3, v2, v[1:2], s[34:35] glc
	s_waitcnt vmcnt(0)
	v_cmp_eq_u32_e32 vcc_lo, 0, v3
	s_or_b32 s27, vcc_lo, s27
	s_delay_alu instid0(SALU_CYCLE_1)
	s_and_not1_b32 exec_lo, exec_lo, s27
	s_cbranch_execnz .LBB0_48
.LBB0_49:                               ;   in Loop: Header=BB0_19 Depth=3
	s_or_b32 exec_lo, exec_lo, s5
	s_waitcnt lgkmcnt(0)
	s_barrier
	buffer_gl0_inv
	s_and_saveexec_b32 s5, s2
	s_cbranch_execz .LBB0_52
; %bb.50:                               ;   in Loop: Header=BB0_19 Depth=3
	v_mov_b32_e32 v3, v16
	v_mov_b32_e32 v4, v0
	s_mul_i32 s27, s26, s29
	s_mov_b32 s34, 0
	.p2align	6
.LBB0_51:                               ;   Parent Loop BB0_3 Depth=1
                                        ;     Parent Loop BB0_12 Depth=2
                                        ;       Parent Loop BB0_19 Depth=3
                                        ; =>      This Inner Loop Header: Depth=4
	s_delay_alu instid0(VALU_DEP_1) | instskip(SKIP_4) | instid1(VALU_DEP_1)
	v_add_nc_u32_e32 v18, s27, v4
	ds_load_b32 v20, v3
	v_add_nc_u32_e32 v4, s49, v4
	v_add_nc_u32_e32 v3, s56, v3
	v_ashrrev_i32_e32 v19, 31, v18
	v_lshlrev_b64 v[18:19], 2, v[18:19]
	s_delay_alu instid0(VALU_DEP_1) | instskip(NEXT) | instid1(VALU_DEP_2)
	v_add_co_u32 v18, vcc_lo, s12, v18
	v_add_co_ci_u32_e32 v19, vcc_lo, s13, v19, vcc_lo
	v_cmp_le_i32_e32 vcc_lo, s29, v4
	global_load_b32 v5, v[18:19], off
	s_or_b32 s34, vcc_lo, s34
	s_waitcnt vmcnt(0) lgkmcnt(0)
	v_fmac_f32_e32 v5, s9, v20
	global_store_b32 v[18:19], v5, off
	s_and_not1_b32 exec_lo, exec_lo, s34
	s_cbranch_execnz .LBB0_51
.LBB0_52:                               ;   in Loop: Header=BB0_19 Depth=3
	s_or_b32 exec_lo, exec_lo, s5
	s_waitcnt_vscnt null, 0x0
	s_barrier
	buffer_gl0_inv
	s_and_saveexec_b32 s5, s4
	s_cbranch_execz .LBB0_54
; %bb.53:                               ;   in Loop: Header=BB0_19 Depth=3
	s_ashr_i32 s27, s26, 31
	s_delay_alu instid0(SALU_CYCLE_1) | instskip(NEXT) | instid1(SALU_CYCLE_1)
	s_lshl_b64 s[34:35], s[26:27], 2
	s_add_u32 s34, s18, s34
	s_addc_u32 s35, s19, s35
	global_store_b32 v2, v2, s[34:35]
.LBB0_54:                               ;   in Loop: Header=BB0_19 Depth=3
	s_or_b32 exec_lo, exec_lo, s5
	s_waitcnt_vscnt null, 0x0
	s_barrier
	buffer_gl0_inv
.LBB0_55:                               ;   in Loop: Header=BB0_19 Depth=3
	s_and_saveexec_b32 s5, s2
	s_cbranch_execz .LBB0_58
; %bb.56:                               ;   in Loop: Header=BB0_19 Depth=3
	v_dual_mov_b32 v3, v10 :: v_dual_mov_b32 v4, v0
	s_waitcnt lgkmcnt(0)
	s_mul_i32 s26, s26, s29
	s_mov_b32 s27, 0
.LBB0_57:                               ;   Parent Loop BB0_3 Depth=1
                                        ;     Parent Loop BB0_12 Depth=2
                                        ;       Parent Loop BB0_19 Depth=3
                                        ; =>      This Inner Loop Header: Depth=4
	s_delay_alu instid0(VALU_DEP_1) | instskip(SKIP_1) | instid1(VALU_DEP_2)
	v_add_nc_u32_e32 v18, s26, v4
	v_add_nc_u32_e32 v4, s49, v4
	v_ashrrev_i32_e32 v19, 31, v18
	s_delay_alu instid0(VALU_DEP_1) | instskip(NEXT) | instid1(VALU_DEP_1)
	v_lshlrev_b64 v[18:19], 2, v[18:19]
	v_add_co_u32 v18, vcc_lo, s22, v18
	s_delay_alu instid0(VALU_DEP_2) | instskip(SKIP_3) | instid1(VALU_DEP_1)
	v_add_co_ci_u32_e32 v19, vcc_lo, s23, v19, vcc_lo
	global_load_b32 v5, v[18:19], off
	s_waitcnt vmcnt(0)
	v_max_f32_e32 v5, v5, v5
	v_max_f32_e32 v5, 0x358637bd, v5
	s_delay_alu instid0(VALU_DEP_1) | instskip(SKIP_1) | instid1(VALU_DEP_1)
	v_cmp_gt_f32_e32 vcc_lo, 0x800000, v5
	v_cndmask_b32_e64 v18, 1.0, 0x4f800000, vcc_lo
	v_mul_f32_e32 v5, v5, v18
	s_delay_alu instid0(VALU_DEP_1) | instskip(SKIP_2) | instid1(VALU_DEP_1)
	v_log_f32_e32 v5, v5
	s_waitcnt_depctr 0xfff
	v_mul_f32_e32 v18, 0x3f317217, v5
	v_fma_f32 v19, 0x3f317217, v5, -v18
	s_delay_alu instid0(VALU_DEP_1) | instskip(NEXT) | instid1(VALU_DEP_1)
	v_fmac_f32_e32 v19, 0x3377d1cf, v5
	v_add_f32_e32 v18, v18, v19
	v_cndmask_b32_e64 v19, 0, 0x41b17218, vcc_lo
	v_cmp_gt_f32_e64 vcc_lo, 0x7f800000, |v5|
	s_delay_alu instid0(VALU_DEP_3) | instskip(NEXT) | instid1(VALU_DEP_1)
	v_dual_cndmask_b32 v5, v5, v18 :: v_dual_add_nc_u32 v18, s53, v3
	v_sub_f32_e32 v5, v5, v19
	v_add_nc_u32_e32 v19, s33, v3
	v_add_nc_u32_e32 v3, s56, v3
	ds_store_b32 v18, v5
	ds_load_b32 v20, v19
	s_waitcnt lgkmcnt(0)
	v_max_f32_e32 v20, v20, v20
	s_delay_alu instid0(VALU_DEP_1) | instskip(NEXT) | instid1(VALU_DEP_1)
	v_max_f32_e32 v20, 0x358637bd, v20
	v_cmp_gt_f32_e32 vcc_lo, 0x800000, v20
	v_cndmask_b32_e64 v21, 1.0, 0x4f800000, vcc_lo
	s_delay_alu instid0(VALU_DEP_1) | instskip(NEXT) | instid1(VALU_DEP_1)
	v_mul_f32_e32 v20, v20, v21
	v_log_f32_e32 v20, v20
	s_waitcnt_depctr 0xfff
	v_mul_f32_e32 v21, 0x3f317217, v20
	s_delay_alu instid0(VALU_DEP_1) | instskip(NEXT) | instid1(VALU_DEP_1)
	v_fma_f32 v22, 0x3f317217, v20, -v21
	v_fmac_f32_e32 v22, 0x3377d1cf, v20
	s_delay_alu instid0(VALU_DEP_1) | instskip(SKIP_2) | instid1(VALU_DEP_3)
	v_add_f32_e32 v21, v21, v22
	v_cndmask_b32_e64 v22, 0, 0x41b17218, vcc_lo
	v_cmp_gt_f32_e64 vcc_lo, 0x7f800000, |v20|
	v_cndmask_b32_e32 v20, v20, v21, vcc_lo
	v_cmp_le_i32_e32 vcc_lo, s29, v4
	s_delay_alu instid0(VALU_DEP_2) | instskip(NEXT) | instid1(VALU_DEP_4)
	v_sub_f32_e32 v20, v20, v22
	s_or_b32 s27, vcc_lo, s27
	s_delay_alu instid0(VALU_DEP_1)
	v_sub_f32_e32 v5, v5, v20
	ds_store_b32 v18, v5
	ds_load_b32 v19, v19
	s_waitcnt lgkmcnt(0)
	v_mul_f32_e32 v5, v19, v5
	ds_store_b32 v18, v5
	s_and_not1_b32 exec_lo, exec_lo, s27
	s_cbranch_execnz .LBB0_57
.LBB0_58:                               ;   in Loop: Header=BB0_19 Depth=3
	s_or_b32 exec_lo, exec_lo, s5
	v_mov_b32_e32 v3, 0
	s_waitcnt lgkmcnt(0)
	s_barrier
	buffer_gl0_inv
	s_and_saveexec_b32 s5, s2
	s_cbranch_execz .LBB0_62
; %bb.59:                               ;   in Loop: Header=BB0_19 Depth=3
	v_dual_mov_b32 v3, 0 :: v_dual_mov_b32 v4, v17
	v_mov_b32_e32 v5, v0
	s_mov_b32 s26, 0
.LBB0_60:                               ;   Parent Loop BB0_3 Depth=1
                                        ;     Parent Loop BB0_12 Depth=2
                                        ;       Parent Loop BB0_19 Depth=3
                                        ; =>      This Inner Loop Header: Depth=4
	ds_load_b32 v18, v4
	v_add_nc_u32_e32 v5, s49, v5
	v_add_nc_u32_e32 v4, s56, v4
	s_delay_alu instid0(VALU_DEP_2)
	v_cmp_le_i32_e32 vcc_lo, s29, v5
	s_or_b32 s26, vcc_lo, s26
	s_waitcnt lgkmcnt(0)
	v_add_f32_e32 v3, v3, v18
	s_and_not1_b32 exec_lo, exec_lo, s26
	s_cbranch_execnz .LBB0_60
; %bb.61:                               ;   in Loop: Header=BB0_19 Depth=3
	s_or_b32 exec_lo, exec_lo, s26
.LBB0_62:                               ;   in Loop: Header=BB0_19 Depth=3
	s_delay_alu instid0(SALU_CYCLE_1)
	s_or_b32 exec_lo, exec_lo, s5
	ds_bpermute_b32 v4, v12, v3
	s_waitcnt lgkmcnt(0)
	v_add_f32_e32 v3, v3, v4
	ds_bpermute_b32 v4, v13, v3
	s_waitcnt lgkmcnt(0)
	v_add_f32_e32 v3, v3, v4
	;; [unrolled: 3-line block ×4, first 2 shown]
	ds_bpermute_b32 v4, v11, v3
	s_and_saveexec_b32 s5, s0
	s_cbranch_execz .LBB0_64
; %bb.63:                               ;   in Loop: Header=BB0_19 Depth=3
	s_waitcnt lgkmcnt(0)
	v_add_f32_e32 v3, v3, v4
	ds_store_b32 v7, v3
.LBB0_64:                               ;   in Loop: Header=BB0_19 Depth=3
	s_or_b32 exec_lo, exec_lo, s5
	s_delay_alu instid0(SALU_CYCLE_1)
	s_and_not1_b32 vcc_lo, exec_lo, s50
	s_waitcnt lgkmcnt(0)
	s_barrier
	buffer_gl0_inv
	s_cbranch_vccnz .LBB0_71
; %bb.65:                               ;   in Loop: Header=BB0_19 Depth=3
	v_mov_b32_e32 v3, 0
	s_and_saveexec_b32 s5, s1
	s_cbranch_execz .LBB0_67
; %bb.66:                               ;   in Loop: Header=BB0_19 Depth=3
	ds_load_b32 v3, v8
.LBB0_67:                               ;   in Loop: Header=BB0_19 Depth=3
	s_or_b32 exec_lo, exec_lo, s5
	s_and_saveexec_b32 s5, s3
	s_cbranch_execz .LBB0_70
; %bb.68:                               ;   in Loop: Header=BB0_19 Depth=3
	s_waitcnt lgkmcnt(0)
	ds_bpermute_b32 v4, v12, v3
	s_waitcnt lgkmcnt(0)
	v_add_f32_e32 v3, v3, v4
	ds_bpermute_b32 v4, v13, v3
	s_waitcnt lgkmcnt(0)
	v_add_f32_e32 v3, v3, v4
	;; [unrolled: 3-line block ×4, first 2 shown]
	ds_bpermute_b32 v4, v11, v3
	s_and_b32 exec_lo, exec_lo, s4
	s_cbranch_execz .LBB0_70
; %bb.69:                               ;   in Loop: Header=BB0_19 Depth=3
	s_waitcnt lgkmcnt(0)
	v_add_f32_e32 v3, v3, v4
	ds_store_b32 v2, v3
.LBB0_70:                               ;   in Loop: Header=BB0_19 Depth=3
	s_or_b32 exec_lo, exec_lo, s5
	s_waitcnt lgkmcnt(0)
	s_barrier
	buffer_gl0_inv
.LBB0_71:                               ;   in Loop: Header=BB0_19 Depth=3
	s_and_saveexec_b32 s5, s4
	s_cbranch_execz .LBB0_17
; %bb.72:                               ;   in Loop: Header=BB0_19 Depth=3
	s_and_b32 s26, s62, exec_lo
	s_cselect_b32 s27, s17, s15
	s_cselect_b32 s26, s16, s14
	ds_load_b32 v4, v2
	global_load_b32 v3, v2, s[26:27]
	s_waitcnt vmcnt(0) lgkmcnt(0)
	v_fmac_f32_e32 v3, s9, v4
	global_store_b32 v2, v3, s[26:27]
	s_branch .LBB0_17
.LBB0_73:                               ;   in Loop: Header=BB0_12 Depth=2
	s_and_saveexec_b32 s8, s2
	s_cbranch_execz .LBB0_11
; %bb.74:                               ;   in Loop: Header=BB0_12 Depth=2
	v_mov_b32_e32 v5, v10
	v_mov_b32_e32 v3, v0
	s_mov_b32 s9, 0
	.p2align	6
.LBB0_75:                               ;   Parent Loop BB0_3 Depth=1
                                        ;     Parent Loop BB0_12 Depth=2
                                        ; =>    This Inner Loop Header: Depth=3
	s_delay_alu instid0(VALU_DEP_1) | instskip(NEXT) | instid1(VALU_DEP_1)
	v_ashrrev_i32_e32 v4, 31, v3
	v_lshlrev_b64 v[18:19], 2, v[3:4]
	s_delay_alu instid0(VALU_DEP_1) | instskip(NEXT) | instid1(VALU_DEP_2)
	v_add_co_u32 v20, vcc_lo, s20, v18
	v_add_co_ci_u32_e32 v21, vcc_lo, s21, v19, vcc_lo
	v_add_co_u32 v18, s5, s11, v18
	s_delay_alu instid0(VALU_DEP_1)
	v_add_co_ci_u32_e64 v19, s5, s57, v19, s5
	global_load_b32 v4, v[20:21], off
	ds_load_b32 v20, v5
	v_add_nc_u32_e32 v3, s49, v3
	s_waitcnt vmcnt(0) lgkmcnt(0)
	v_dual_add_f32 v4, v20, v4 :: v_dual_add_nc_u32 v5, s56, v5
	s_delay_alu instid0(VALU_DEP_2) | instskip(SKIP_2) | instid1(SALU_CYCLE_1)
	v_cmp_le_i32_e32 vcc_lo, s29, v3
	global_store_b32 v[18:19], v4, off
	s_or_b32 s9, vcc_lo, s9
	s_and_not1_b32 exec_lo, exec_lo, s9
	s_cbranch_execnz .LBB0_75
	s_branch .LBB0_11
.LBB0_76:                               ;   in Loop: Header=BB0_3 Depth=1
	v_mov_b32_e32 v5, 0
	s_and_saveexec_b32 s5, s2
	s_cbranch_execz .LBB0_80
; %bb.77:                               ;   in Loop: Header=BB0_3 Depth=1
	v_mov_b32_e32 v5, 0
	v_mov_b32_e32 v3, v0
	s_mov_b32 s6, 0
.LBB0_78:                               ;   Parent Loop BB0_3 Depth=1
                                        ; =>  This Inner Loop Header: Depth=2
	s_delay_alu instid0(VALU_DEP_1) | instskip(NEXT) | instid1(VALU_DEP_1)
	v_ashrrev_i32_e32 v4, 31, v3
	v_lshlrev_b64 v[18:19], 2, v[3:4]
	v_add_nc_u32_e32 v3, s49, v3
	s_delay_alu instid0(VALU_DEP_2) | instskip(NEXT) | instid1(VALU_DEP_3)
	v_add_co_u32 v18, vcc_lo, s11, v18
	v_add_co_ci_u32_e32 v19, vcc_lo, s57, v19, vcc_lo
	s_delay_alu instid0(VALU_DEP_3)
	v_cmp_le_i32_e32 vcc_lo, s29, v3
	global_load_b32 v4, v[18:19], off
	s_or_b32 s6, vcc_lo, s6
	s_waitcnt vmcnt(0)
	v_add_f32_e32 v5, v5, v4
	s_and_not1_b32 exec_lo, exec_lo, s6
	s_cbranch_execnz .LBB0_78
; %bb.79:                               ;   in Loop: Header=BB0_3 Depth=1
	s_or_b32 exec_lo, exec_lo, s6
.LBB0_80:                               ;   in Loop: Header=BB0_3 Depth=1
	s_delay_alu instid0(SALU_CYCLE_1)
	s_or_b32 exec_lo, exec_lo, s5
	ds_bpermute_b32 v3, v12, v5
	s_waitcnt lgkmcnt(0)
	v_add_f32_e32 v3, v5, v3
	ds_bpermute_b32 v4, v13, v3
	s_waitcnt lgkmcnt(0)
	v_add_f32_e32 v3, v3, v4
	;; [unrolled: 3-line block ×4, first 2 shown]
	ds_bpermute_b32 v4, v11, v3
	s_and_saveexec_b32 s5, s0
	s_cbranch_execz .LBB0_82
; %bb.81:                               ;   in Loop: Header=BB0_3 Depth=1
	s_waitcnt lgkmcnt(0)
	v_add_f32_e32 v3, v3, v4
	ds_store_b32 v7, v3
.LBB0_82:                               ;   in Loop: Header=BB0_3 Depth=1
	s_or_b32 exec_lo, exec_lo, s5
	s_delay_alu instid0(SALU_CYCLE_1)
	s_and_not1_b32 vcc_lo, exec_lo, s50
	s_waitcnt lgkmcnt(0)
	s_barrier
	buffer_gl0_inv
	s_cbranch_vccnz .LBB0_89
; %bb.83:                               ;   in Loop: Header=BB0_3 Depth=1
	v_mov_b32_e32 v3, 0
	s_and_saveexec_b32 s5, s1
	s_cbranch_execz .LBB0_85
; %bb.84:                               ;   in Loop: Header=BB0_3 Depth=1
	ds_load_b32 v3, v8
.LBB0_85:                               ;   in Loop: Header=BB0_3 Depth=1
	s_or_b32 exec_lo, exec_lo, s5
	s_and_saveexec_b32 s5, s3
	s_cbranch_execz .LBB0_88
; %bb.86:                               ;   in Loop: Header=BB0_3 Depth=1
	s_waitcnt lgkmcnt(0)
	ds_bpermute_b32 v4, v12, v3
	s_waitcnt lgkmcnt(0)
	v_add_f32_e32 v3, v3, v4
	ds_bpermute_b32 v4, v13, v3
	s_waitcnt lgkmcnt(0)
	v_add_f32_e32 v3, v3, v4
	;; [unrolled: 3-line block ×4, first 2 shown]
	ds_bpermute_b32 v4, v11, v3
	s_and_b32 exec_lo, exec_lo, s4
	s_cbranch_execz .LBB0_88
; %bb.87:                               ;   in Loop: Header=BB0_3 Depth=1
	s_waitcnt lgkmcnt(0)
	v_add_f32_e32 v3, v3, v4
	ds_store_b32 v2, v3
.LBB0_88:                               ;   in Loop: Header=BB0_3 Depth=1
	s_or_b32 exec_lo, exec_lo, s5
	s_waitcnt lgkmcnt(0)
	s_barrier
	buffer_gl0_inv
.LBB0_89:                               ;   in Loop: Header=BB0_3 Depth=1
	v_mov_b32_e32 v3, 0
	s_and_saveexec_b32 s9, s2
	s_cbranch_execz .LBB0_102
; %bb.90:                               ;   in Loop: Header=BB0_3 Depth=1
	ds_load_b32 v18, v2
	v_mov_b32_e32 v3, v0
	s_mov_b32 s26, 0
	s_waitcnt lgkmcnt(0)
	v_cmp_gt_f32_e64 s5, 0x40e00000, v18
	s_branch .LBB0_92
.LBB0_91:                               ;   in Loop: Header=BB0_92 Depth=2
	v_add_co_u32 v4, vcc_lo, s46, v4
	v_add_co_ci_u32_e32 v5, vcc_lo, s47, v5, vcc_lo
	v_dual_add_f32 v21, -0.5, v21 :: v_dual_add_f32 v22, -0.5, v22
	global_load_b32 v23, v[4:5], off
	v_div_scale_f32 v24, null, v21, v21, 1.0
	v_cmp_gt_f32_e32 vcc_lo, 0x800000, v21
	v_div_scale_f32 v25, null, v22, v22, 1.0
	s_delay_alu instid0(VALU_DEP_3) | instskip(SKIP_2) | instid1(VALU_DEP_3)
	v_rcp_f32_e32 v26, v24
	v_cmp_gt_f32_e64 s6, 0x800000, v22
	v_cndmask_b32_e64 v27, 1.0, 0x4f800000, vcc_lo
	v_rcp_f32_e32 v29, v25
	v_div_scale_f32 v31, s7, 1.0, v21, 1.0
	s_delay_alu instid0(VALU_DEP_3) | instskip(NEXT) | instid1(VALU_DEP_3)
	v_cndmask_b32_e64 v28, 1.0, 0x4f800000, s6
	v_mul_f32_e32 v27, v21, v27
	v_cndmask_b32_e64 v39, 0, 0x41b17218, vcc_lo
	s_mov_b32 vcc_lo, s7
	s_delay_alu instid0(TRANS32_DEP_2) | instskip(SKIP_2) | instid1(TRANS32_DEP_2)
	v_fma_f32 v30, -v24, v26, 1.0
	v_mul_f32_e32 v28, v22, v28
	v_log_f32_e32 v27, v27
	v_fma_f32 v32, -v25, v29, 1.0
	s_delay_alu instid0(VALU_DEP_3) | instskip(NEXT) | instid1(VALU_DEP_3)
	v_fmac_f32_e32 v26, v30, v26
	v_log_f32_e32 v28, v28
	v_div_scale_f32 v30, s8, 1.0, v22, 1.0
	s_delay_alu instid0(VALU_DEP_2) | instskip(SKIP_4) | instid1(VALU_DEP_3)
	v_dual_fmac_f32 v29, v32, v29 :: v_dual_mul_f32 v32, v31, v26
	s_waitcnt_depctr 0xfff
	v_dual_mul_f32 v33, 0x3f317217, v27 :: v_dual_mul_f32 v34, v30, v29
	v_fma_f32 v36, -v24, v32, v31
	v_mul_f32_e32 v35, 0x3f317217, v28
	v_fma_f32 v37, 0x3f317217, v27, -v33
	s_delay_alu instid0(VALU_DEP_4) | instskip(NEXT) | instid1(VALU_DEP_4)
	v_fma_f32 v38, -v25, v34, v30
	v_fmac_f32_e32 v32, v36, v26
	s_delay_alu instid0(VALU_DEP_4) | instskip(NEXT) | instid1(VALU_DEP_4)
	v_fma_f32 v40, 0x3f317217, v28, -v35
	v_fmac_f32_e32 v37, 0x3377d1cf, v27
	v_cndmask_b32_e64 v36, 0, 0x41b17218, s6
	s_delay_alu instid0(VALU_DEP_4) | instskip(NEXT) | instid1(VALU_DEP_3)
	v_fma_f32 v24, -v24, v32, v31
	v_dual_fmac_f32 v40, 0x3377d1cf, v28 :: v_dual_add_f32 v31, v33, v37
	v_fmac_f32_e32 v34, v38, v29
	s_delay_alu instid0(VALU_DEP_3) | instskip(SKIP_1) | instid1(VALU_DEP_2)
	v_div_fmas_f32 v24, v24, v26, v32
	s_mov_b32 vcc_lo, s8
	v_fma_f32 v25, -v25, v34, v30
	s_delay_alu instid0(VALU_DEP_2) | instskip(SKIP_1) | instid1(VALU_DEP_3)
	v_div_fixup_f32 v21, v24, v21, 1.0
	v_add_f32_e32 v26, v35, v40
	v_div_fmas_f32 v25, v25, v29, v34
	v_cmp_gt_f32_e64 vcc_lo, 0x7f800000, |v27|
	s_delay_alu instid0(VALU_DEP_4) | instskip(NEXT) | instid1(VALU_DEP_3)
	v_mul_f32_e32 v21, v21, v21
	v_div_fixup_f32 v22, v25, v22, 1.0
	v_cndmask_b32_e32 v27, v27, v31, vcc_lo
	v_cmp_gt_f32_e64 vcc_lo, 0x7f800000, |v28|
	s_delay_alu instid0(VALU_DEP_2) | instskip(SKIP_1) | instid1(VALU_DEP_2)
	v_dual_mul_f32 v22, v22, v22 :: v_dual_sub_f32 v25, v27, v39
	v_dual_mul_f32 v27, v21, v21 :: v_dual_cndmask_b32 v24, v28, v26
	v_dual_fmac_f32 v25, 0x3d2aaaab, v21 :: v_dual_mul_f32 v28, v22, v22
	s_delay_alu instid0(VALU_DEP_2) | instskip(NEXT) | instid1(VALU_DEP_3)
	v_sub_f32_e32 v24, v24, v36
	v_mul_f32_e32 v30, 0x3b7befbf, v27
	s_delay_alu instid0(VALU_DEP_3) | instskip(NEXT) | instid1(VALU_DEP_4)
	v_fmac_f32_e32 v25, 0xbbeeeeef, v27
	v_dual_mul_f32 v33, 0x3b877777, v27 :: v_dual_mul_f32 v34, 0x3b877777, v28
	v_dual_mul_f32 v31, 0x3b7befbf, v28 :: v_dual_lshlrev_b32 v26, 2, v3
	s_delay_alu instid0(VALU_DEP_3) | instskip(SKIP_1) | instid1(VALU_DEP_2)
	v_fmac_f32_e32 v25, v21, v30
	v_add_nc_u32_e32 v3, s49, v3
	v_fma_f32 v21, -v27, v33, v25
	v_fmac_f32_e32 v24, 0x3d2aaaab, v22
	s_delay_alu instid0(VALU_DEP_3) | instskip(NEXT) | instid1(VALU_DEP_2)
	v_cmp_le_i32_e32 vcc_lo, s29, v3
	v_dual_add_f32 v19, v19, v21 :: v_dual_fmac_f32 v24, 0xbbeeeeef, v28
	v_add_nc_u32_e32 v21, s45, v26
	v_add_nc_u32_e32 v29, 0x80, v26
	s_or_b32 s26, vcc_lo, s26
	s_delay_alu instid0(VALU_DEP_3) | instskip(SKIP_2) | instid1(VALU_DEP_1)
	v_fmac_f32_e32 v24, v22, v31
	ds_load_b32 v32, v29
	v_fma_f32 v22, -v28, v34, v24
	v_add_f32_e32 v20, v20, v22
	s_delay_alu instid0(VALU_DEP_1) | instskip(SKIP_1) | instid1(VALU_DEP_1)
	v_sub_f32_e32 v19, v19, v20
	s_waitcnt lgkmcnt(0)
	v_mul_f32_e32 v20, v32, v19
	ds_store_b32 v29, v20
	ds_load_b32 v20, v21
	s_waitcnt vmcnt(0)
	v_add_f32_e32 v22, v23, v19
	s_waitcnt lgkmcnt(0)
	v_mul_f32_e32 v19, v20, v19
	global_store_b32 v[4:5], v22, off
	ds_store_b32 v21, v19
	s_and_not1_b32 exec_lo, exec_lo, s26
	s_cbranch_execz .LBB0_99
.LBB0_92:                               ;   Parent Loop BB0_3 Depth=1
                                        ; =>  This Loop Header: Depth=2
                                        ;       Child Loop BB0_94 Depth 3
                                        ;       Child Loop BB0_98 Depth 3
	v_ashrrev_i32_e32 v4, 31, v3
	s_mov_b32 s6, exec_lo
	s_delay_alu instid0(VALU_DEP_1) | instskip(NEXT) | instid1(VALU_DEP_1)
	v_lshlrev_b64 v[4:5], 2, v[3:4]
	v_add_co_u32 v19, vcc_lo, s11, v4
	s_delay_alu instid0(VALU_DEP_2)
	v_add_co_ci_u32_e32 v20, vcc_lo, s57, v5, vcc_lo
	global_load_b32 v21, v[19:20], off
	v_mov_b32_e32 v19, 0
	s_waitcnt vmcnt(0)
	v_cmpx_gt_f32_e32 0x40e00000, v21
	s_cbranch_execz .LBB0_96
; %bb.93:                               ;   in Loop: Header=BB0_92 Depth=2
	v_mov_b32_e32 v19, 0
	s_mov_b32 s7, 0
	.p2align	6
.LBB0_94:                               ;   Parent Loop BB0_3 Depth=1
                                        ;     Parent Loop BB0_92 Depth=2
                                        ; =>    This Inner Loop Header: Depth=3
	v_div_scale_f32 v20, null, v21, v21, 1.0
	v_div_scale_f32 v24, vcc_lo, 1.0, v21, 1.0
	s_delay_alu instid0(VALU_DEP_2) | instskip(SKIP_2) | instid1(VALU_DEP_1)
	v_rcp_f32_e32 v22, v20
	s_waitcnt_depctr 0xfff
	v_fma_f32 v23, -v20, v22, 1.0
	v_fmac_f32_e32 v22, v23, v22
	s_delay_alu instid0(VALU_DEP_1) | instskip(NEXT) | instid1(VALU_DEP_1)
	v_mul_f32_e32 v23, v24, v22
	v_fma_f32 v25, -v20, v23, v24
	s_delay_alu instid0(VALU_DEP_1) | instskip(NEXT) | instid1(VALU_DEP_1)
	v_fmac_f32_e32 v23, v25, v22
	v_fma_f32 v20, -v20, v23, v24
	s_delay_alu instid0(VALU_DEP_1) | instskip(NEXT) | instid1(VALU_DEP_1)
	v_div_fmas_f32 v20, v20, v22, v23
	v_div_fixup_f32 v20, v20, v21, 1.0
	v_add_f32_e32 v21, 1.0, v21
	s_delay_alu instid0(VALU_DEP_2) | instskip(NEXT) | instid1(VALU_DEP_2)
	v_sub_f32_e32 v19, v19, v20
	v_cmp_ngt_f32_e32 vcc_lo, 0x40e00000, v21
	s_or_b32 s7, vcc_lo, s7
	s_delay_alu instid0(SALU_CYCLE_1)
	s_and_not1_b32 exec_lo, exec_lo, s7
	s_cbranch_execnz .LBB0_94
; %bb.95:                               ;   in Loop: Header=BB0_92 Depth=2
	s_or_b32 exec_lo, exec_lo, s7
.LBB0_96:                               ;   in Loop: Header=BB0_92 Depth=2
	s_delay_alu instid0(SALU_CYCLE_1)
	s_or_b32 exec_lo, exec_lo, s6
	v_mov_b32_e32 v20, 0
	v_mov_b32_e32 v22, v18
	s_and_not1_b32 vcc_lo, exec_lo, s5
	s_cbranch_vccnz .LBB0_91
; %bb.97:                               ;   in Loop: Header=BB0_92 Depth=2
	v_mov_b32_e32 v20, 0
	v_mov_b32_e32 v22, v18
	.p2align	6
.LBB0_98:                               ;   Parent Loop BB0_3 Depth=1
                                        ;     Parent Loop BB0_92 Depth=2
                                        ; =>    This Inner Loop Header: Depth=3
	s_delay_alu instid0(VALU_DEP_1) | instskip(SKIP_1) | instid1(VALU_DEP_2)
	v_div_scale_f32 v23, null, v22, v22, 1.0
	v_div_scale_f32 v26, vcc_lo, 1.0, v22, 1.0
	v_rcp_f32_e32 v24, v23
	s_waitcnt_depctr 0xfff
	v_fma_f32 v25, -v23, v24, 1.0
	s_delay_alu instid0(VALU_DEP_1) | instskip(NEXT) | instid1(VALU_DEP_1)
	v_fmac_f32_e32 v24, v25, v24
	v_mul_f32_e32 v25, v26, v24
	s_delay_alu instid0(VALU_DEP_1) | instskip(NEXT) | instid1(VALU_DEP_1)
	v_fma_f32 v27, -v23, v25, v26
	v_fmac_f32_e32 v25, v27, v24
	s_delay_alu instid0(VALU_DEP_1) | instskip(NEXT) | instid1(VALU_DEP_1)
	v_fma_f32 v23, -v23, v25, v26
	v_div_fmas_f32 v23, v23, v24, v25
	s_delay_alu instid0(VALU_DEP_1) | instskip(SKIP_1) | instid1(VALU_DEP_2)
	v_div_fixup_f32 v23, v23, v22, 1.0
	v_add_f32_e32 v22, 1.0, v22
	v_sub_f32_e32 v20, v20, v23
	s_delay_alu instid0(VALU_DEP_2)
	v_cmp_gt_f32_e32 vcc_lo, 0x40e00000, v22
	s_cbranch_vccnz .LBB0_98
	s_branch .LBB0_91
.LBB0_99:                               ;   in Loop: Header=BB0_3 Depth=1
	s_or_b32 exec_lo, exec_lo, s26
	v_dual_mov_b32 v3, 0 :: v_dual_mov_b32 v4, v10
	v_mov_b32_e32 v5, v0
	s_mov_b32 s5, 0
.LBB0_100:                              ;   Parent Loop BB0_3 Depth=1
                                        ; =>  This Inner Loop Header: Depth=2
	ds_load_b32 v18, v4
	v_add_nc_u32_e32 v5, s49, v5
	v_add_nc_u32_e32 v4, s56, v4
	s_delay_alu instid0(VALU_DEP_2)
	v_cmp_le_i32_e32 vcc_lo, s29, v5
	s_or_b32 s5, vcc_lo, s5
	s_waitcnt lgkmcnt(0)
	v_add_f32_e32 v3, v3, v18
	s_and_not1_b32 exec_lo, exec_lo, s5
	s_cbranch_execnz .LBB0_100
; %bb.101:                              ;   in Loop: Header=BB0_3 Depth=1
	s_or_b32 exec_lo, exec_lo, s5
.LBB0_102:                              ;   in Loop: Header=BB0_3 Depth=1
	s_delay_alu instid0(SALU_CYCLE_1)
	s_or_b32 exec_lo, exec_lo, s9
	ds_bpermute_b32 v4, v12, v3
	s_waitcnt lgkmcnt(0)
	v_add_f32_e32 v3, v3, v4
	ds_bpermute_b32 v4, v13, v3
	s_waitcnt lgkmcnt(0)
	v_add_f32_e32 v3, v3, v4
	;; [unrolled: 3-line block ×4, first 2 shown]
	ds_bpermute_b32 v4, v11, v3
	s_and_saveexec_b32 s5, s0
	s_cbranch_execz .LBB0_104
; %bb.103:                              ;   in Loop: Header=BB0_3 Depth=1
	s_waitcnt lgkmcnt(0)
	v_add_f32_e32 v3, v3, v4
	ds_store_b32 v7, v3
.LBB0_104:                              ;   in Loop: Header=BB0_3 Depth=1
	s_or_b32 exec_lo, exec_lo, s5
	s_delay_alu instid0(SALU_CYCLE_1)
	s_and_not1_b32 vcc_lo, exec_lo, s50
	s_waitcnt lgkmcnt(0)
	s_waitcnt_vscnt null, 0x0
	s_barrier
	buffer_gl0_inv
	s_cbranch_vccnz .LBB0_111
; %bb.105:                              ;   in Loop: Header=BB0_3 Depth=1
	v_mov_b32_e32 v3, 0
	s_and_saveexec_b32 s5, s1
	s_cbranch_execz .LBB0_107
; %bb.106:                              ;   in Loop: Header=BB0_3 Depth=1
	ds_load_b32 v3, v8
.LBB0_107:                              ;   in Loop: Header=BB0_3 Depth=1
	s_or_b32 exec_lo, exec_lo, s5
	s_and_saveexec_b32 s5, s3
	s_cbranch_execz .LBB0_110
; %bb.108:                              ;   in Loop: Header=BB0_3 Depth=1
	s_waitcnt lgkmcnt(0)
	ds_bpermute_b32 v4, v12, v3
	s_waitcnt lgkmcnt(0)
	v_add_f32_e32 v3, v3, v4
	ds_bpermute_b32 v4, v13, v3
	s_waitcnt lgkmcnt(0)
	v_add_f32_e32 v3, v3, v4
	;; [unrolled: 3-line block ×4, first 2 shown]
	ds_bpermute_b32 v4, v11, v3
	s_and_b32 exec_lo, exec_lo, s4
	s_cbranch_execz .LBB0_110
; %bb.109:                              ;   in Loop: Header=BB0_3 Depth=1
	s_waitcnt lgkmcnt(0)
	v_add_f32_e32 v3, v3, v4
	ds_store_b32 v2, v3
.LBB0_110:                              ;   in Loop: Header=BB0_3 Depth=1
	s_or_b32 exec_lo, exec_lo, s5
	s_waitcnt lgkmcnt(0)
	s_barrier
	buffer_gl0_inv
.LBB0_111:                              ;   in Loop: Header=BB0_3 Depth=1
	ds_load_b32 v3, v2
	v_mov_b32_e32 v4, 0
	s_and_saveexec_b32 s5, s2
	s_cbranch_execz .LBB0_115
; %bb.112:                              ;   in Loop: Header=BB0_3 Depth=1
	v_dual_mov_b32 v4, 0 :: v_dual_mov_b32 v5, v9
	v_mov_b32_e32 v18, v0
	s_mov_b32 s6, 0
.LBB0_113:                              ;   Parent Loop BB0_3 Depth=1
                                        ; =>  This Inner Loop Header: Depth=2
	ds_load_b32 v19, v5
	v_add_nc_u32_e32 v18, s49, v18
	v_add_nc_u32_e32 v5, s56, v5
	s_delay_alu instid0(VALU_DEP_2)
	v_cmp_le_i32_e32 vcc_lo, s29, v18
	s_or_b32 s6, vcc_lo, s6
	s_waitcnt lgkmcnt(0)
	v_add_f32_e32 v4, v4, v19
	s_and_not1_b32 exec_lo, exec_lo, s6
	s_cbranch_execnz .LBB0_113
; %bb.114:                              ;   in Loop: Header=BB0_3 Depth=1
	s_or_b32 exec_lo, exec_lo, s6
.LBB0_115:                              ;   in Loop: Header=BB0_3 Depth=1
	s_delay_alu instid0(SALU_CYCLE_1)
	s_or_b32 exec_lo, exec_lo, s5
	ds_bpermute_b32 v5, v12, v4
	s_waitcnt lgkmcnt(0)
	v_add_f32_e32 v4, v4, v5
	ds_bpermute_b32 v5, v13, v4
	s_waitcnt lgkmcnt(0)
	v_add_f32_e32 v4, v4, v5
	;; [unrolled: 3-line block ×4, first 2 shown]
	ds_bpermute_b32 v5, v11, v4
	s_and_saveexec_b32 s5, s0
	s_cbranch_execz .LBB0_117
; %bb.116:                              ;   in Loop: Header=BB0_3 Depth=1
	s_waitcnt lgkmcnt(0)
	v_add_f32_e32 v4, v4, v5
	ds_store_b32 v7, v4
.LBB0_117:                              ;   in Loop: Header=BB0_3 Depth=1
	s_or_b32 exec_lo, exec_lo, s5
	s_delay_alu instid0(SALU_CYCLE_1)
	s_and_not1_b32 vcc_lo, exec_lo, s50
	s_waitcnt lgkmcnt(0)
	s_barrier
	buffer_gl0_inv
	s_cbranch_vccnz .LBB0_124
; %bb.118:                              ;   in Loop: Header=BB0_3 Depth=1
	v_mov_b32_e32 v4, 0
	s_and_saveexec_b32 s5, s1
	s_cbranch_execz .LBB0_120
; %bb.119:                              ;   in Loop: Header=BB0_3 Depth=1
	ds_load_b32 v4, v8
.LBB0_120:                              ;   in Loop: Header=BB0_3 Depth=1
	s_or_b32 exec_lo, exec_lo, s5
	s_and_saveexec_b32 s5, s3
	s_cbranch_execz .LBB0_123
; %bb.121:                              ;   in Loop: Header=BB0_3 Depth=1
	s_waitcnt lgkmcnt(0)
	ds_bpermute_b32 v5, v12, v4
	s_waitcnt lgkmcnt(0)
	v_add_f32_e32 v4, v4, v5
	ds_bpermute_b32 v5, v13, v4
	s_waitcnt lgkmcnt(0)
	v_add_f32_e32 v4, v4, v5
	;; [unrolled: 3-line block ×4, first 2 shown]
	ds_bpermute_b32 v5, v11, v4
	s_and_b32 exec_lo, exec_lo, s4
	s_cbranch_execz .LBB0_123
; %bb.122:                              ;   in Loop: Header=BB0_3 Depth=1
	s_waitcnt lgkmcnt(0)
	v_add_f32_e32 v4, v4, v5
	ds_store_b32 v2, v4
.LBB0_123:                              ;   in Loop: Header=BB0_3 Depth=1
	s_or_b32 exec_lo, exec_lo, s5
	s_waitcnt lgkmcnt(0)
	s_barrier
	buffer_gl0_inv
.LBB0_124:                              ;   in Loop: Header=BB0_3 Depth=1
	s_and_saveexec_b32 s5, s4
	s_cbranch_execz .LBB0_2
; %bb.125:                              ;   in Loop: Header=BB0_3 Depth=1
	s_clause 0x1
	global_load_b32 v4, v2, s[14:15]
	global_load_b32 v5, v2, s[16:17]
	ds_load_b32 v18, v2
	s_waitcnt vmcnt(0) lgkmcnt(0)
	v_dual_add_f32 v3, v3, v4 :: v_dual_add_f32 v4, v18, v5
	s_clause 0x1
	global_store_b32 v2, v3, s[14:15]
	global_store_b32 v2, v4, s[16:17]
	s_branch .LBB0_2
.LBB0_126:
	s_endpgm
	.section	.rodata,"a",@progbits
	.p2align	6, 0x0
	.amdhsa_kernel _Z11EstepKernelPKiS0_PKbPKfbiiiiS4_S4_PfS5_S5_S5_S5_Pi
		.amdhsa_group_segment_fixed_size 128
		.amdhsa_private_segment_fixed_size 0
		.amdhsa_kernarg_size 376
		.amdhsa_user_sgpr_count 15
		.amdhsa_user_sgpr_dispatch_ptr 0
		.amdhsa_user_sgpr_queue_ptr 0
		.amdhsa_user_sgpr_kernarg_segment_ptr 1
		.amdhsa_user_sgpr_dispatch_id 0
		.amdhsa_user_sgpr_private_segment_size 0
		.amdhsa_wavefront_size32 1
		.amdhsa_uses_dynamic_stack 0
		.amdhsa_enable_private_segment 0
		.amdhsa_system_sgpr_workgroup_id_x 1
		.amdhsa_system_sgpr_workgroup_id_y 0
		.amdhsa_system_sgpr_workgroup_id_z 0
		.amdhsa_system_sgpr_workgroup_info 0
		.amdhsa_system_vgpr_workitem_id 0
		.amdhsa_next_free_vgpr 41
		.amdhsa_next_free_sgpr 66
		.amdhsa_reserve_vcc 1
		.amdhsa_float_round_mode_32 0
		.amdhsa_float_round_mode_16_64 0
		.amdhsa_float_denorm_mode_32 3
		.amdhsa_float_denorm_mode_16_64 3
		.amdhsa_dx10_clamp 1
		.amdhsa_ieee_mode 1
		.amdhsa_fp16_overflow 0
		.amdhsa_workgroup_processor_mode 1
		.amdhsa_memory_ordered 1
		.amdhsa_forward_progress 0
		.amdhsa_shared_vgpr_count 0
		.amdhsa_exception_fp_ieee_invalid_op 0
		.amdhsa_exception_fp_denorm_src 0
		.amdhsa_exception_fp_ieee_div_zero 0
		.amdhsa_exception_fp_ieee_overflow 0
		.amdhsa_exception_fp_ieee_underflow 0
		.amdhsa_exception_fp_ieee_inexact 0
		.amdhsa_exception_int_div_zero 0
	.end_amdhsa_kernel
	.text
.Lfunc_end0:
	.size	_Z11EstepKernelPKiS0_PKbPKfbiiiiS4_S4_PfS5_S5_S5_S5_Pi, .Lfunc_end0-_Z11EstepKernelPKiS0_PKbPKfbiiiiS4_S4_PfS5_S5_S5_S5_Pi
                                        ; -- End function
	.section	.AMDGPU.csdata,"",@progbits
; Kernel info:
; codeLenInByte = 6064
; NumSgprs: 68
; NumVgprs: 41
; ScratchSize: 0
; MemoryBound: 0
; FloatMode: 240
; IeeeMode: 1
; LDSByteSize: 128 bytes/workgroup (compile time only)
; SGPRBlocks: 8
; VGPRBlocks: 5
; NumSGPRsForWavesPerEU: 68
; NumVGPRsForWavesPerEU: 41
; Occupancy: 16
; WaveLimiterHint : 1
; COMPUTE_PGM_RSRC2:SCRATCH_EN: 0
; COMPUTE_PGM_RSRC2:USER_SGPR: 15
; COMPUTE_PGM_RSRC2:TRAP_HANDLER: 0
; COMPUTE_PGM_RSRC2:TGID_X_EN: 1
; COMPUTE_PGM_RSRC2:TGID_Y_EN: 0
; COMPUTE_PGM_RSRC2:TGID_Z_EN: 0
; COMPUTE_PGM_RSRC2:TIDIG_COMP_CNT: 0
	.text
	.p2alignl 7, 3214868480
	.fill 96, 4, 3214868480
	.type	__hip_cuid_1c8ee6c904ce9696,@object ; @__hip_cuid_1c8ee6c904ce9696
	.section	.bss,"aw",@nobits
	.globl	__hip_cuid_1c8ee6c904ce9696
__hip_cuid_1c8ee6c904ce9696:
	.byte	0                               ; 0x0
	.size	__hip_cuid_1c8ee6c904ce9696, 1

	.ident	"AMD clang version 19.0.0git (https://github.com/RadeonOpenCompute/llvm-project roc-6.4.0 25133 c7fe45cf4b819c5991fe208aaa96edf142730f1d)"
	.section	".note.GNU-stack","",@progbits
	.addrsig
	.addrsig_sym __hip_cuid_1c8ee6c904ce9696
	.amdgpu_metadata
---
amdhsa.kernels:
  - .args:
      - .actual_access:  read_only
        .address_space:  global
        .offset:         0
        .size:           8
        .value_kind:     global_buffer
      - .actual_access:  read_only
        .address_space:  global
        .offset:         8
        .size:           8
        .value_kind:     global_buffer
      - .actual_access:  read_only
        .address_space:  global
        .offset:         16
        .size:           8
        .value_kind:     global_buffer
      - .actual_access:  read_only
        .address_space:  global
        .offset:         24
        .size:           8
        .value_kind:     global_buffer
      - .offset:         32
        .size:           1
        .value_kind:     by_value
      - .offset:         36
        .size:           4
        .value_kind:     by_value
      - .offset:         40
        .size:           4
        .value_kind:     by_value
      - .offset:         44
        .size:           4
        .value_kind:     by_value
      - .offset:         48
        .size:           4
        .value_kind:     by_value
      - .actual_access:  read_only
        .address_space:  global
        .offset:         56
        .size:           8
        .value_kind:     global_buffer
      - .actual_access:  read_only
        .address_space:  global
        .offset:         64
        .size:           8
        .value_kind:     global_buffer
      - .address_space:  global
        .offset:         72
        .size:           8
        .value_kind:     global_buffer
      - .address_space:  global
        .offset:         80
        .size:           8
        .value_kind:     global_buffer
      - .address_space:  global
        .offset:         88
        .size:           8
        .value_kind:     global_buffer
      - .address_space:  global
        .offset:         96
        .size:           8
        .value_kind:     global_buffer
      - .address_space:  global
        .offset:         104
        .size:           8
        .value_kind:     global_buffer
      - .address_space:  global
        .offset:         112
        .size:           8
        .value_kind:     global_buffer
      - .offset:         120
        .size:           4
        .value_kind:     hidden_block_count_x
      - .offset:         124
        .size:           4
        .value_kind:     hidden_block_count_y
      - .offset:         128
        .size:           4
        .value_kind:     hidden_block_count_z
      - .offset:         132
        .size:           2
        .value_kind:     hidden_group_size_x
      - .offset:         134
        .size:           2
        .value_kind:     hidden_group_size_y
      - .offset:         136
        .size:           2
        .value_kind:     hidden_group_size_z
      - .offset:         138
        .size:           2
        .value_kind:     hidden_remainder_x
      - .offset:         140
        .size:           2
        .value_kind:     hidden_remainder_y
      - .offset:         142
        .size:           2
        .value_kind:     hidden_remainder_z
      - .offset:         160
        .size:           8
        .value_kind:     hidden_global_offset_x
      - .offset:         168
        .size:           8
        .value_kind:     hidden_global_offset_y
      - .offset:         176
        .size:           8
        .value_kind:     hidden_global_offset_z
      - .offset:         184
        .size:           2
        .value_kind:     hidden_grid_dims
      - .offset:         240
        .size:           4
        .value_kind:     hidden_dynamic_lds_size
    .group_segment_fixed_size: 128
    .kernarg_segment_align: 8
    .kernarg_segment_size: 376
    .language:       OpenCL C
    .language_version:
      - 2
      - 0
    .max_flat_workgroup_size: 1024
    .name:           _Z11EstepKernelPKiS0_PKbPKfbiiiiS4_S4_PfS5_S5_S5_S5_Pi
    .private_segment_fixed_size: 0
    .sgpr_count:     68
    .sgpr_spill_count: 0
    .symbol:         _Z11EstepKernelPKiS0_PKbPKfbiiiiS4_S4_PfS5_S5_S5_S5_Pi.kd
    .uniform_work_group_size: 1
    .uses_dynamic_stack: false
    .vgpr_count:     41
    .vgpr_spill_count: 0
    .wavefront_size: 32
    .workgroup_processor_mode: 1
amdhsa.target:   amdgcn-amd-amdhsa--gfx1100
amdhsa.version:
  - 1
  - 2
...

	.end_amdgpu_metadata
